;; amdgpu-corpus repo=ROCm/rocFFT kind=compiled arch=gfx1030 opt=O3
	.text
	.amdgcn_target "amdgcn-amd-amdhsa--gfx1030"
	.amdhsa_code_object_version 6
	.protected	fft_rtc_fwd_len1014_factors_13_6_13_wgs_156_tpt_78_sp_op_CI_CI_unitstride_sbrr_C2R_dirReg ; -- Begin function fft_rtc_fwd_len1014_factors_13_6_13_wgs_156_tpt_78_sp_op_CI_CI_unitstride_sbrr_C2R_dirReg
	.globl	fft_rtc_fwd_len1014_factors_13_6_13_wgs_156_tpt_78_sp_op_CI_CI_unitstride_sbrr_C2R_dirReg
	.p2align	8
	.type	fft_rtc_fwd_len1014_factors_13_6_13_wgs_156_tpt_78_sp_op_CI_CI_unitstride_sbrr_C2R_dirReg,@function
fft_rtc_fwd_len1014_factors_13_6_13_wgs_156_tpt_78_sp_op_CI_CI_unitstride_sbrr_C2R_dirReg: ; @fft_rtc_fwd_len1014_factors_13_6_13_wgs_156_tpt_78_sp_op_CI_CI_unitstride_sbrr_C2R_dirReg
; %bb.0:
	s_clause 0x2
	s_load_dwordx4 s[12:15], s[4:5], 0x0
	s_load_dwordx4 s[8:11], s[4:5], 0x58
	;; [unrolled: 1-line block ×3, first 2 shown]
	v_mul_u32_u24_e32 v1, 0x349, v0
	v_mov_b32_e32 v3, 0
	v_lshrrev_b32_e32 v7, 16, v1
	v_mov_b32_e32 v1, 0
	v_mov_b32_e32 v6, v3
	v_mov_b32_e32 v2, 0
	v_lshl_add_u32 v5, s6, 1, v7
	s_waitcnt lgkmcnt(0)
	v_cmp_lt_u64_e64 s0, s[14:15], 2
	s_and_b32 vcc_lo, exec_lo, s0
	s_cbranch_vccnz .LBB0_8
; %bb.1:
	s_load_dwordx2 s[0:1], s[4:5], 0x10
	v_mov_b32_e32 v1, 0
	v_mov_b32_e32 v2, 0
	s_add_u32 s2, s18, 8
	s_addc_u32 s3, s19, 0
	s_add_u32 s6, s16, 8
	s_addc_u32 s7, s17, 0
	v_mov_b32_e32 v33, v2
	v_mov_b32_e32 v32, v1
	s_mov_b64 s[22:23], 1
	s_waitcnt lgkmcnt(0)
	s_add_u32 s20, s0, 8
	s_addc_u32 s21, s1, 0
.LBB0_2:                                ; =>This Inner Loop Header: Depth=1
	s_load_dwordx2 s[24:25], s[20:21], 0x0
                                        ; implicit-def: $vgpr36_vgpr37
	s_mov_b32 s0, exec_lo
	s_waitcnt lgkmcnt(0)
	v_or_b32_e32 v4, s25, v6
	v_cmpx_ne_u64_e32 0, v[3:4]
	s_xor_b32 s1, exec_lo, s0
	s_cbranch_execz .LBB0_4
; %bb.3:                                ;   in Loop: Header=BB0_2 Depth=1
	v_cvt_f32_u32_e32 v4, s24
	v_cvt_f32_u32_e32 v8, s25
	s_sub_u32 s0, 0, s24
	s_subb_u32 s26, 0, s25
	v_fmac_f32_e32 v4, 0x4f800000, v8
	v_rcp_f32_e32 v4, v4
	v_mul_f32_e32 v4, 0x5f7ffffc, v4
	v_mul_f32_e32 v8, 0x2f800000, v4
	v_trunc_f32_e32 v8, v8
	v_fmac_f32_e32 v4, 0xcf800000, v8
	v_cvt_u32_f32_e32 v8, v8
	v_cvt_u32_f32_e32 v4, v4
	v_mul_lo_u32 v9, s0, v8
	v_mul_hi_u32 v10, s0, v4
	v_mul_lo_u32 v11, s26, v4
	v_add_nc_u32_e32 v9, v10, v9
	v_mul_lo_u32 v10, s0, v4
	v_add_nc_u32_e32 v9, v9, v11
	v_mul_hi_u32 v11, v4, v10
	v_mul_lo_u32 v12, v4, v9
	v_mul_hi_u32 v13, v4, v9
	v_mul_hi_u32 v14, v8, v10
	v_mul_lo_u32 v10, v8, v10
	v_mul_hi_u32 v15, v8, v9
	v_mul_lo_u32 v9, v8, v9
	v_add_co_u32 v11, vcc_lo, v11, v12
	v_add_co_ci_u32_e32 v12, vcc_lo, 0, v13, vcc_lo
	v_add_co_u32 v10, vcc_lo, v11, v10
	v_add_co_ci_u32_e32 v10, vcc_lo, v12, v14, vcc_lo
	v_add_co_ci_u32_e32 v11, vcc_lo, 0, v15, vcc_lo
	v_add_co_u32 v9, vcc_lo, v10, v9
	v_add_co_ci_u32_e32 v10, vcc_lo, 0, v11, vcc_lo
	v_add_co_u32 v4, vcc_lo, v4, v9
	v_add_co_ci_u32_e32 v8, vcc_lo, v8, v10, vcc_lo
	v_mul_hi_u32 v9, s0, v4
	v_mul_lo_u32 v11, s26, v4
	v_mul_lo_u32 v10, s0, v8
	v_add_nc_u32_e32 v9, v9, v10
	v_mul_lo_u32 v10, s0, v4
	v_add_nc_u32_e32 v9, v9, v11
	v_mul_hi_u32 v11, v4, v10
	v_mul_lo_u32 v12, v4, v9
	v_mul_hi_u32 v13, v4, v9
	v_mul_hi_u32 v14, v8, v10
	v_mul_lo_u32 v10, v8, v10
	v_mul_hi_u32 v15, v8, v9
	v_mul_lo_u32 v9, v8, v9
	v_add_co_u32 v11, vcc_lo, v11, v12
	v_add_co_ci_u32_e32 v12, vcc_lo, 0, v13, vcc_lo
	v_add_co_u32 v10, vcc_lo, v11, v10
	v_add_co_ci_u32_e32 v10, vcc_lo, v12, v14, vcc_lo
	v_add_co_ci_u32_e32 v11, vcc_lo, 0, v15, vcc_lo
	v_add_co_u32 v9, vcc_lo, v10, v9
	v_add_co_ci_u32_e32 v10, vcc_lo, 0, v11, vcc_lo
	v_add_co_u32 v4, vcc_lo, v4, v9
	v_add_co_ci_u32_e32 v12, vcc_lo, v8, v10, vcc_lo
	v_mul_hi_u32 v14, v5, v4
	v_mad_u64_u32 v[10:11], null, v6, v4, 0
	v_mad_u64_u32 v[8:9], null, v5, v12, 0
	v_mad_u64_u32 v[12:13], null, v6, v12, 0
	v_add_co_u32 v4, vcc_lo, v14, v8
	v_add_co_ci_u32_e32 v8, vcc_lo, 0, v9, vcc_lo
	v_add_co_u32 v4, vcc_lo, v4, v10
	v_add_co_ci_u32_e32 v4, vcc_lo, v8, v11, vcc_lo
	v_add_co_ci_u32_e32 v8, vcc_lo, 0, v13, vcc_lo
	v_add_co_u32 v4, vcc_lo, v4, v12
	v_add_co_ci_u32_e32 v10, vcc_lo, 0, v8, vcc_lo
	v_mul_lo_u32 v11, s25, v4
	v_mad_u64_u32 v[8:9], null, s24, v4, 0
	v_mul_lo_u32 v12, s24, v10
	v_sub_co_u32 v8, vcc_lo, v5, v8
	v_add3_u32 v9, v9, v12, v11
	v_sub_nc_u32_e32 v11, v6, v9
	v_subrev_co_ci_u32_e64 v11, s0, s25, v11, vcc_lo
	v_add_co_u32 v12, s0, v4, 2
	v_add_co_ci_u32_e64 v13, s0, 0, v10, s0
	v_sub_co_u32 v14, s0, v8, s24
	v_sub_co_ci_u32_e32 v9, vcc_lo, v6, v9, vcc_lo
	v_subrev_co_ci_u32_e64 v11, s0, 0, v11, s0
	v_cmp_le_u32_e32 vcc_lo, s24, v14
	v_cmp_eq_u32_e64 s0, s25, v9
	v_cndmask_b32_e64 v14, 0, -1, vcc_lo
	v_cmp_le_u32_e32 vcc_lo, s25, v11
	v_cndmask_b32_e64 v15, 0, -1, vcc_lo
	v_cmp_le_u32_e32 vcc_lo, s24, v8
	;; [unrolled: 2-line block ×3, first 2 shown]
	v_cndmask_b32_e64 v16, 0, -1, vcc_lo
	v_cmp_eq_u32_e32 vcc_lo, s25, v11
	v_cndmask_b32_e64 v8, v16, v8, s0
	v_cndmask_b32_e32 v11, v15, v14, vcc_lo
	v_add_co_u32 v14, vcc_lo, v4, 1
	v_add_co_ci_u32_e32 v15, vcc_lo, 0, v10, vcc_lo
	v_cmp_ne_u32_e32 vcc_lo, 0, v11
	v_cndmask_b32_e32 v9, v15, v13, vcc_lo
	v_cndmask_b32_e32 v11, v14, v12, vcc_lo
	v_cmp_ne_u32_e32 vcc_lo, 0, v8
	v_cndmask_b32_e32 v37, v10, v9, vcc_lo
	v_cndmask_b32_e32 v36, v4, v11, vcc_lo
.LBB0_4:                                ;   in Loop: Header=BB0_2 Depth=1
	s_andn2_saveexec_b32 s0, s1
	s_cbranch_execz .LBB0_6
; %bb.5:                                ;   in Loop: Header=BB0_2 Depth=1
	v_cvt_f32_u32_e32 v4, s24
	s_sub_i32 s1, 0, s24
	v_mov_b32_e32 v37, v3
	v_rcp_iflag_f32_e32 v4, v4
	v_mul_f32_e32 v4, 0x4f7ffffe, v4
	v_cvt_u32_f32_e32 v4, v4
	v_mul_lo_u32 v8, s1, v4
	v_mul_hi_u32 v8, v4, v8
	v_add_nc_u32_e32 v4, v4, v8
	v_mul_hi_u32 v4, v5, v4
	v_mul_lo_u32 v8, v4, s24
	v_add_nc_u32_e32 v9, 1, v4
	v_sub_nc_u32_e32 v8, v5, v8
	v_subrev_nc_u32_e32 v10, s24, v8
	v_cmp_le_u32_e32 vcc_lo, s24, v8
	v_cndmask_b32_e32 v8, v8, v10, vcc_lo
	v_cndmask_b32_e32 v4, v4, v9, vcc_lo
	v_cmp_le_u32_e32 vcc_lo, s24, v8
	v_add_nc_u32_e32 v9, 1, v4
	v_cndmask_b32_e32 v36, v4, v9, vcc_lo
.LBB0_6:                                ;   in Loop: Header=BB0_2 Depth=1
	s_or_b32 exec_lo, exec_lo, s0
	v_mul_lo_u32 v4, v37, s24
	v_mul_lo_u32 v10, v36, s25
	s_load_dwordx2 s[0:1], s[6:7], 0x0
	v_mad_u64_u32 v[8:9], null, v36, s24, 0
	s_load_dwordx2 s[24:25], s[2:3], 0x0
	s_add_u32 s22, s22, 1
	s_addc_u32 s23, s23, 0
	s_add_u32 s2, s2, 8
	s_addc_u32 s3, s3, 0
	s_add_u32 s6, s6, 8
	v_add3_u32 v4, v9, v10, v4
	v_sub_co_u32 v5, vcc_lo, v5, v8
	s_addc_u32 s7, s7, 0
	s_add_u32 s20, s20, 8
	v_sub_co_ci_u32_e32 v4, vcc_lo, v6, v4, vcc_lo
	s_addc_u32 s21, s21, 0
	s_waitcnt lgkmcnt(0)
	v_mul_lo_u32 v6, s0, v4
	v_mul_lo_u32 v8, s1, v5
	v_mad_u64_u32 v[1:2], null, s0, v5, v[1:2]
	v_mul_lo_u32 v4, s24, v4
	v_mul_lo_u32 v9, s25, v5
	v_mad_u64_u32 v[32:33], null, s24, v5, v[32:33]
	v_cmp_ge_u64_e64 s0, s[22:23], s[14:15]
	v_add3_u32 v2, v8, v2, v6
	v_add3_u32 v33, v9, v33, v4
	s_and_b32 vcc_lo, exec_lo, s0
	s_cbranch_vccnz .LBB0_9
; %bb.7:                                ;   in Loop: Header=BB0_2 Depth=1
	v_mov_b32_e32 v5, v36
	v_mov_b32_e32 v6, v37
	s_branch .LBB0_2
.LBB0_8:
	v_mov_b32_e32 v33, v2
	v_mov_b32_e32 v37, v6
	;; [unrolled: 1-line block ×4, first 2 shown]
.LBB0_9:
	s_load_dwordx2 s[0:1], s[4:5], 0x28
	v_and_b32_e32 v3, 1, v7
	v_mul_hi_u32 v4, 0x3483484, v0
	s_lshl_b64 s[4:5], s[14:15], 3
                                        ; implicit-def: $vgpr34
	s_add_u32 s2, s18, s4
	s_addc_u32 s3, s19, s5
	s_waitcnt lgkmcnt(0)
	v_cmp_gt_u64_e32 vcc_lo, s[0:1], v[36:37]
	v_cmp_le_u64_e64 s1, s[0:1], v[36:37]
	v_cmp_eq_u32_e64 s0, 1, v3
	s_and_saveexec_b32 s6, s1
	s_xor_b32 s1, exec_lo, s6
; %bb.10:
	v_mul_u32_u24_e32 v1, 0x4e, v4
                                        ; implicit-def: $vgpr4
	v_sub_nc_u32_e32 v34, v0, v1
                                        ; implicit-def: $vgpr0
                                        ; implicit-def: $vgpr1_vgpr2
; %bb.11:
	s_or_saveexec_b32 s1, s1
	s_load_dwordx2 s[2:3], s[2:3], 0x0
	v_cndmask_b32_e64 v3, 0, 0x3f7, s0
	v_lshlrev_b32_e32 v44, 3, v3
	s_xor_b32 exec_lo, exec_lo, s1
	s_cbranch_execz .LBB0_15
; %bb.12:
	s_add_u32 s4, s16, s4
	s_addc_u32 s5, s17, s5
	v_lshlrev_b64 v[1:2], 3, v[1:2]
	s_load_dwordx2 s[4:5], s[4:5], 0x0
	s_waitcnt lgkmcnt(0)
	v_mul_lo_u32 v7, s5, v36
	v_mul_lo_u32 v8, s4, v37
	v_mad_u64_u32 v[5:6], null, s4, v36, 0
	s_mov_b32 s4, exec_lo
	v_add3_u32 v6, v6, v8, v7
	v_mul_u32_u24_e32 v7, 0x4e, v4
	v_lshlrev_b64 v[4:5], 3, v[5:6]
	v_sub_nc_u32_e32 v34, v0, v7
	v_lshlrev_b32_e32 v30, 3, v34
	v_add_co_u32 v0, s0, s8, v4
	v_add_co_ci_u32_e64 v4, s0, s9, v5, s0
	v_add_co_u32 v0, s0, v0, v1
	v_add_co_ci_u32_e64 v1, s0, v4, v2, s0
	v_add3_u32 v2, 0, v44, v30
	v_add_co_u32 v4, s0, v0, v30
	v_add_co_ci_u32_e64 v5, s0, 0, v1, s0
	s_clause 0x3
	global_load_dwordx2 v[6:7], v[4:5], off
	global_load_dwordx2 v[8:9], v[4:5], off offset:624
	global_load_dwordx2 v[10:11], v[4:5], off offset:1248
	;; [unrolled: 1-line block ×3, first 2 shown]
	v_add_co_u32 v14, s0, 0x800, v4
	v_add_co_ci_u32_e64 v15, s0, 0, v5, s0
	v_add_co_u32 v16, s0, 0x1000, v4
	v_add_co_ci_u32_e64 v17, s0, 0, v5, s0
	;; [unrolled: 2-line block ×3, first 2 shown]
	s_clause 0x8
	global_load_dwordx2 v[18:19], v[14:15], off offset:448
	global_load_dwordx2 v[20:21], v[14:15], off offset:1072
	;; [unrolled: 1-line block ×9, first 2 shown]
	v_add_nc_u32_e32 v30, 0x800, v2
	v_add_nc_u32_e32 v31, 0xc00, v2
	;; [unrolled: 1-line block ×4, first 2 shown]
	s_waitcnt vmcnt(11)
	ds_write2_b64 v2, v[6:7], v[8:9] offset1:78
	s_waitcnt vmcnt(9)
	ds_write2_b64 v2, v[10:11], v[12:13] offset0:156 offset1:234
	s_waitcnt vmcnt(7)
	ds_write2_b64 v30, v[18:19], v[20:21] offset0:56 offset1:134
	;; [unrolled: 2-line block ×5, first 2 shown]
	s_waitcnt vmcnt(0)
	ds_write_b64 v2, v[4:5] offset:7488
	v_cmpx_eq_u32_e32 0x4d, v34
	s_cbranch_execz .LBB0_14
; %bb.13:
	v_add_co_u32 v0, s0, 0x1800, v0
	v_add_co_ci_u32_e64 v1, s0, 0, v1, s0
	v_mov_b32_e32 v34, 0x4d
	global_load_dwordx2 v[0:1], v[0:1], off offset:1968
	s_waitcnt vmcnt(0)
	ds_write_b64 v2, v[0:1] offset:7496
.LBB0_14:
	s_or_b32 exec_lo, exec_lo, s4
.LBB0_15:
	s_or_b32 exec_lo, exec_lo, s1
	v_lshl_add_u32 v42, v3, 3, 0
	v_lshlrev_b32_e32 v4, 3, v34
	s_waitcnt lgkmcnt(0)
	s_barrier
	buffer_gl0_inv
	s_add_u32 s1, s12, 0x1f48
	v_add_nc_u32_e32 v43, v42, v4
	v_sub_nc_u32_e32 v5, v42, v4
	s_addc_u32 s4, s13, 0
	s_mov_b32 s5, exec_lo
	ds_read_b32 v6, v43
	ds_read_b32 v7, v5 offset:8112
                                        ; implicit-def: $vgpr2_vgpr3
	s_waitcnt lgkmcnt(0)
	v_add_f32_e32 v0, v7, v6
	v_sub_f32_e32 v1, v6, v7
	v_cmpx_ne_u32_e32 0, v34
	s_xor_b32 s5, exec_lo, s5
	s_cbranch_execz .LBB0_17
; %bb.16:
	v_mov_b32_e32 v35, 0
	v_add_f32_e32 v8, v7, v6
	v_sub_f32_e32 v9, v6, v7
	v_lshlrev_b64 v[0:1], 3, v[34:35]
	v_add_co_u32 v0, s0, s1, v0
	v_add_co_ci_u32_e64 v1, s0, s4, v1, s0
	global_load_dwordx2 v[2:3], v[0:1], off
	ds_read_b32 v0, v5 offset:8116
	ds_read_b32 v1, v43 offset:4
	s_waitcnt lgkmcnt(0)
	v_add_f32_e32 v10, v0, v1
	v_sub_f32_e32 v0, v1, v0
	s_waitcnt vmcnt(0)
	v_fma_f32 v6, -v9, v3, v8
	v_fma_f32 v7, v10, v3, -v0
	v_fma_f32 v11, v9, v3, v8
	v_fma_f32 v1, v10, v3, v0
	v_fmac_f32_e32 v6, v2, v10
	v_fmac_f32_e32 v7, v9, v2
	v_fma_f32 v0, -v2, v10, v11
	v_fmac_f32_e32 v1, v9, v2
	v_mov_b32_e32 v2, v34
	v_mov_b32_e32 v3, v35
	ds_write_b64 v5, v[6:7] offset:8112
.LBB0_17:
	s_andn2_saveexec_b32 s0, s5
	s_cbranch_execz .LBB0_19
; %bb.18:
	ds_read_b64 v[2:3], v42 offset:4056
	s_waitcnt lgkmcnt(0)
	v_add_f32_e32 v6, v2, v2
	v_mul_f32_e32 v7, -2.0, v3
	v_mov_b32_e32 v2, 0
	v_mov_b32_e32 v3, 0
	ds_write_b64 v42, v[6:7] offset:4056
.LBB0_19:
	s_or_b32 exec_lo, exec_lo, s0
	v_lshlrev_b64 v[2:3], 3, v[2:3]
	v_add_co_u32 v2, s0, s1, v2
	v_add_co_ci_u32_e64 v3, s0, s4, v3, s0
	s_mov_b32 s1, exec_lo
	s_clause 0x2
	global_load_dwordx2 v[6:7], v[2:3], off offset:624
	global_load_dwordx2 v[8:9], v[2:3], off offset:1248
	;; [unrolled: 1-line block ×3, first 2 shown]
	v_add_co_u32 v2, s0, 0x800, v2
	v_add_co_ci_u32_e64 v3, s0, 0, v3, s0
	s_clause 0x1
	global_load_dwordx2 v[12:13], v[2:3], off offset:448
	global_load_dwordx2 v[14:15], v[2:3], off offset:1072
	ds_write_b64 v43, v[0:1]
	ds_read_b64 v[0:1], v43 offset:624
	ds_read_b64 v[16:17], v5 offset:7488
	s_waitcnt lgkmcnt(0)
	v_add_f32_e32 v18, v0, v16
	v_add_f32_e32 v19, v17, v1
	v_sub_f32_e32 v20, v0, v16
	v_sub_f32_e32 v0, v1, v17
	s_waitcnt vmcnt(4)
	v_fma_f32 v21, v20, v7, v18
	v_fma_f32 v1, v19, v7, v0
	v_fma_f32 v16, -v20, v7, v18
	v_fma_f32 v17, v19, v7, -v0
	v_fma_f32 v0, -v6, v19, v21
	v_fmac_f32_e32 v1, v20, v6
	v_fmac_f32_e32 v16, v6, v19
	v_fmac_f32_e32 v17, v20, v6
	ds_write_b64 v43, v[0:1] offset:624
	ds_write_b64 v5, v[16:17] offset:7488
	ds_read_b64 v[0:1], v43 offset:1248
	ds_read_b64 v[6:7], v5 offset:6864
	s_waitcnt lgkmcnt(0)
	v_add_f32_e32 v16, v0, v6
	v_add_f32_e32 v17, v7, v1
	v_sub_f32_e32 v18, v0, v6
	v_sub_f32_e32 v0, v1, v7
	s_waitcnt vmcnt(3)
	v_fma_f32 v19, v18, v9, v16
	v_fma_f32 v1, v17, v9, v0
	v_fma_f32 v6, -v18, v9, v16
	v_fma_f32 v7, v17, v9, -v0
	v_fma_f32 v0, -v8, v17, v19
	v_fmac_f32_e32 v1, v18, v8
	v_fmac_f32_e32 v6, v8, v17
	v_fmac_f32_e32 v7, v18, v8
	ds_write_b64 v43, v[0:1] offset:1248
	ds_write_b64 v5, v[6:7] offset:6864
	;; [unrolled: 18-line block ×5, first 2 shown]
	v_cmpx_gt_u32_e32 39, v34
	s_cbranch_execz .LBB0_21
; %bb.20:
	global_load_dwordx2 v[0:1], v[2:3], off offset:1696
	ds_read_b64 v[2:3], v43 offset:3744
	ds_read_b64 v[6:7], v5 offset:4368
	s_waitcnt lgkmcnt(0)
	v_add_f32_e32 v8, v2, v6
	v_add_f32_e32 v9, v7, v3
	v_sub_f32_e32 v10, v2, v6
	v_sub_f32_e32 v3, v3, v7
	s_waitcnt vmcnt(0)
	v_fma_f32 v11, v10, v1, v8
	v_fma_f32 v2, v9, v1, v3
	v_fma_f32 v6, -v10, v1, v8
	v_fma_f32 v7, v9, v1, -v3
	v_fma_f32 v1, -v0, v9, v11
	v_fmac_f32_e32 v2, v10, v0
	v_fmac_f32_e32 v6, v0, v9
	v_fmac_f32_e32 v7, v10, v0
	ds_write_b64 v43, v[1:2] offset:3744
	ds_write_b64 v5, v[6:7] offset:4368
.LBB0_21:
	s_or_b32 exec_lo, exec_lo, s1
	v_add3_u32 v35, 0, v4, v44
	s_waitcnt lgkmcnt(0)
	s_barrier
	buffer_gl0_inv
	s_barrier
	buffer_gl0_inv
	ds_read_b64 v[21:22], v43
	ds_read2_b64 v[12:15], v35 offset0:78 offset1:156
	v_add_nc_u32_e32 v10, 0x1800, v35
	v_add_nc_u32_e32 v45, 0x400, v35
	ds_read2_b64 v[16:19], v10 offset0:90 offset1:168
	ds_read2_b64 v[25:28], v45 offset0:106 offset1:184
	v_add_nc_u32_e32 v20, 0x800, v35
	v_add_nc_u32_e32 v24, 0x1000, v35
	;; [unrolled: 1-line block ×3, first 2 shown]
	ds_read2_b64 v[0:3], v20 offset0:134 offset1:212
	ds_read2_b64 v[4:7], v24 offset0:34 offset1:112
	;; [unrolled: 1-line block ×3, first 2 shown]
	s_waitcnt lgkmcnt(0)
	s_barrier
	buffer_gl0_inv
	v_cmp_gt_u32_e64 s0, 13, v34
	v_add_f32_e32 v8, v21, v12
	v_add_f32_e32 v9, v22, v13
	;; [unrolled: 1-line block ×6, first 2 shown]
	v_sub_f32_e32 v13, v13, v19
	v_add_f32_e32 v8, v8, v25
	v_add_f32_e32 v9, v9, v26
	v_sub_f32_e32 v12, v12, v18
	v_add_f32_e32 v30, v16, v14
	v_mul_f32_e32 v31, 0xbeedf032, v13
	v_add_f32_e32 v8, v8, v27
	v_add_f32_e32 v9, v9, v28
	v_mul_f32_e32 v46, 0xbeedf032, v12
	v_mul_f32_e32 v48, 0xbf52af12, v12
	v_mul_f32_e32 v50, 0xbf7e222b, v12
	v_add_f32_e32 v8, v8, v0
	v_add_f32_e32 v9, v9, v1
	v_mul_f32_e32 v51, 0xbf6f5d39, v13
	v_mul_f32_e32 v52, 0xbf6f5d39, v12
	;; [unrolled: 5-line block ×3, first 2 shown]
	v_mul_f32_e32 v49, 0xbf7e222b, v13
	v_add_f32_e32 v8, v8, v4
	v_add_f32_e32 v9, v9, v5
	v_fma_f32 v53, 0x3f62ad3f, v23, -v31
	v_fmamk_f32 v54, v29, 0x3f62ad3f, v46
	v_fma_f32 v46, 0x3f62ad3f, v29, -v46
	v_add_f32_e32 v8, v8, v6
	v_add_f32_e32 v9, v9, v7
	v_fmamk_f32 v56, v29, 0x3f116cb1, v48
	v_fma_f32 v48, 0x3f116cb1, v29, -v48
	v_fmamk_f32 v58, v29, 0x3df6dbef, v50
	v_add_f32_e32 v8, v8, v38
	v_add_f32_e32 v9, v9, v39
	v_fma_f32 v50, 0x3df6dbef, v29, -v50
	v_fma_f32 v59, 0xbeb58ec6, v23, -v51
	v_sub_f32_e32 v14, v14, v16
	v_add_f32_e32 v8, v8, v40
	v_add_f32_e32 v9, v9, v41
	v_fmamk_f32 v61, v29, 0xbf3f9e67, v60
	v_fma_f32 v60, 0xbf3f9e67, v29, -v60
	v_fmamk_f32 v63, v29, 0xbf788fa5, v12
	v_add_f32_e32 v8, v8, v16
	v_add_f32_e32 v9, v9, v17
	v_fmamk_f32 v16, v29, 0xbeb58ec6, v52
	v_fma_f32 v52, 0xbeb58ec6, v29, -v52
	v_fma_f32 v12, 0xbf788fa5, v29, -v12
	v_add_f32_e32 v8, v8, v18
	v_add_f32_e32 v18, v17, v15
	v_sub_f32_e32 v15, v15, v17
	v_mul_f32_e32 v17, 0xbf29c268, v13
	v_mul_f32_e32 v13, 0xbe750f2a, v13
	v_fmac_f32_e32 v31, 0x3f62ad3f, v23
	v_fma_f32 v55, 0x3f116cb1, v23, -v47
	v_mul_f32_e32 v64, 0xbf52af12, v15
	v_fmac_f32_e32 v47, 0x3f116cb1, v23
	v_fma_f32 v57, 0x3df6dbef, v23, -v49
	v_fmac_f32_e32 v49, 0x3df6dbef, v23
	v_add_f32_e32 v53, v21, v53
	v_add_f32_e32 v54, v22, v54
	;; [unrolled: 1-line block ×9, first 2 shown]
	v_fmac_f32_e32 v51, 0xbeb58ec6, v23
	v_add_f32_e32 v16, v22, v16
	v_fma_f32 v59, 0xbf3f9e67, v23, -v17
	v_add_f32_e32 v52, v22, v52
	v_fmac_f32_e32 v17, 0xbf3f9e67, v23
	v_fma_f32 v62, 0xbf788fa5, v23, -v13
	v_add_f32_e32 v61, v22, v61
	v_add_f32_e32 v60, v22, v60
	v_fmac_f32_e32 v13, 0xbf788fa5, v23
	v_mul_f32_e32 v23, 0xbf52af12, v14
	v_add_f32_e32 v29, v22, v63
	v_fma_f32 v63, 0x3f116cb1, v30, -v64
	v_add_f32_e32 v12, v22, v12
	v_mul_f32_e32 v22, 0xbf6f5d39, v15
	v_add_f32_e32 v31, v21, v31
	v_add_f32_e32 v55, v21, v55
	v_add_f32_e32 v47, v21, v47
	v_add_f32_e32 v57, v21, v57
	v_add_f32_e32 v49, v21, v49
	v_add_f32_e32 v51, v21, v51
	v_add_f32_e32 v59, v21, v59
	v_add_f32_e32 v17, v21, v17
	v_add_f32_e32 v62, v21, v62
	v_add_f32_e32 v13, v21, v13
	v_fmamk_f32 v21, v18, 0x3f116cb1, v23
	v_add_f32_e32 v53, v63, v53
	v_fmac_f32_e32 v64, 0x3f116cb1, v30
	v_fma_f32 v23, 0x3f116cb1, v18, -v23
	v_mul_f32_e32 v63, 0xbf6f5d39, v14
	v_fma_f32 v65, 0xbeb58ec6, v30, -v22
	v_add_f32_e32 v21, v21, v54
	v_add_f32_e32 v31, v64, v31
	;; [unrolled: 1-line block ×3, first 2 shown]
	v_fmamk_f32 v46, v18, 0xbeb58ec6, v63
	v_add_f32_e32 v54, v65, v55
	v_fmac_f32_e32 v22, 0xbeb58ec6, v30
	v_mul_f32_e32 v55, 0xbe750f2a, v15
	v_mul_f32_e32 v64, 0xbe750f2a, v14
	v_fma_f32 v63, 0xbeb58ec6, v18, -v63
	v_add_f32_e32 v46, v46, v56
	v_add_f32_e32 v22, v22, v47
	v_fma_f32 v47, 0xbf788fa5, v30, -v55
	v_fmamk_f32 v56, v18, 0xbf788fa5, v64
	v_add_f32_e32 v48, v63, v48
	v_fmac_f32_e32 v55, 0xbf788fa5, v30
	v_mul_f32_e32 v63, 0x3f29c268, v15
	v_add_f32_e32 v47, v47, v57
	v_fma_f32 v57, 0xbf788fa5, v18, -v64
	v_add_f32_e32 v56, v56, v58
	v_mul_f32_e32 v58, 0x3f29c268, v14
	v_fma_f32 v64, 0xbf3f9e67, v30, -v63
	v_add_f32_e32 v49, v55, v49
	v_add_f32_e32 v50, v57, v50
	v_mul_f32_e32 v55, 0x3f7e222b, v15
	v_fmamk_f32 v57, v18, 0xbf3f9e67, v58
	v_add_f32_e32 v19, v64, v19
	v_fmac_f32_e32 v63, 0xbf3f9e67, v30
	v_fma_f32 v58, 0xbf3f9e67, v18, -v58
	v_fma_f32 v64, 0x3df6dbef, v30, -v55
	v_add_f32_e32 v16, v57, v16
	v_mul_f32_e32 v57, 0x3f7e222b, v14
	v_mul_f32_e32 v15, 0x3eedf032, v15
	v_fmac_f32_e32 v55, 0x3df6dbef, v30
	v_add_f32_e32 v51, v63, v51
	v_add_f32_e32 v52, v58, v52
	;; [unrolled: 1-line block ×3, first 2 shown]
	v_fmamk_f32 v59, v18, 0x3df6dbef, v57
	v_fma_f32 v57, 0x3df6dbef, v18, -v57
	v_fma_f32 v63, 0x3f62ad3f, v30, -v15
	v_add_f32_e32 v17, v55, v17
	v_sub_f32_e32 v55, v26, v41
	v_mul_f32_e32 v14, 0x3eedf032, v14
	v_add_f32_e32 v57, v57, v60
	v_add_f32_e32 v60, v63, v62
	v_sub_f32_e32 v62, v25, v40
	v_add_f32_e32 v25, v40, v25
	v_mul_f32_e32 v40, 0xbf7e222b, v55
	v_add_f32_e32 v59, v59, v61
	v_fmamk_f32 v61, v18, 0x3f62ad3f, v14
	v_fmac_f32_e32 v15, 0x3f62ad3f, v30
	v_fma_f32 v14, 0x3f62ad3f, v18, -v14
	v_add_f32_e32 v18, v41, v26
	v_mul_f32_e32 v26, 0xbf7e222b, v62
	v_fma_f32 v30, 0x3df6dbef, v25, -v40
	v_add_f32_e32 v13, v15, v13
	v_add_f32_e32 v12, v14, v12
	v_fmac_f32_e32 v40, 0x3df6dbef, v25
	v_fmamk_f32 v14, v18, 0x3df6dbef, v26
	v_add_f32_e32 v15, v30, v53
	v_mul_f32_e32 v30, 0xbe750f2a, v55
	v_fma_f32 v26, 0x3df6dbef, v18, -v26
	v_mul_f32_e32 v41, 0xbe750f2a, v62
	v_add_f32_e32 v14, v14, v21
	v_add_f32_e32 v31, v40, v31
	v_fma_f32 v21, 0xbf788fa5, v25, -v30
	v_mul_f32_e32 v40, 0x3f6f5d39, v55
	v_add_f32_e32 v23, v26, v23
	v_fmamk_f32 v26, v18, 0xbf788fa5, v41
	v_fmac_f32_e32 v30, 0xbf788fa5, v25
	v_add_f32_e32 v21, v21, v54
	v_fma_f32 v41, 0xbf788fa5, v18, -v41
	v_mul_f32_e32 v53, 0x3f6f5d39, v62
	v_fma_f32 v54, 0xbeb58ec6, v25, -v40
	v_add_f32_e32 v26, v26, v46
	v_add_f32_e32 v22, v30, v22
	;; [unrolled: 1-line block ×3, first 2 shown]
	v_fma_f32 v48, 0xbeb58ec6, v18, -v53
	v_add_f32_e32 v46, v54, v47
	v_mul_f32_e32 v47, 0x3eedf032, v55
	v_fmamk_f32 v41, v18, 0xbeb58ec6, v53
	v_fmac_f32_e32 v40, 0xbeb58ec6, v25
	v_mul_f32_e32 v53, 0x3eedf032, v62
	v_add_f32_e32 v48, v48, v50
	v_fma_f32 v54, 0x3f62ad3f, v25, -v47
	v_mul_f32_e32 v50, 0xbf52af12, v55
	v_add_f32_e32 v41, v41, v56
	v_add_f32_e32 v40, v40, v49
	v_fmamk_f32 v49, v18, 0x3f62ad3f, v53
	v_add_f32_e32 v19, v54, v19
	v_mul_f32_e32 v54, 0xbf52af12, v62
	v_fma_f32 v56, 0x3f116cb1, v25, -v50
	v_fmac_f32_e32 v50, 0x3f116cb1, v25
	v_fmac_f32_e32 v47, 0x3f62ad3f, v25
	v_fma_f32 v53, 0x3f62ad3f, v18, -v53
	v_add_f32_e32 v16, v49, v16
	v_fmamk_f32 v49, v18, 0x3f116cb1, v54
	v_fma_f32 v54, 0x3f116cb1, v18, -v54
	v_add_f32_e32 v17, v50, v17
	v_sub_f32_e32 v50, v28, v39
	v_add_f32_e32 v47, v47, v51
	v_add_f32_e32 v51, v53, v52
	v_mul_f32_e32 v53, 0xbf29c268, v55
	v_add_f32_e32 v49, v49, v59
	v_mul_f32_e32 v55, 0xbf29c268, v62
	v_add_f32_e32 v54, v54, v57
	v_add_f32_e32 v57, v38, v27
	v_mul_f32_e32 v59, 0xbf6f5d39, v50
	v_sub_f32_e32 v27, v27, v38
	v_add_f32_e32 v52, v56, v58
	v_fma_f32 v56, 0xbf3f9e67, v25, -v53
	v_fmamk_f32 v58, v18, 0xbf3f9e67, v55
	v_fmac_f32_e32 v53, 0xbf3f9e67, v25
	v_fma_f32 v18, 0xbf3f9e67, v18, -v55
	v_fma_f32 v25, 0xbeb58ec6, v57, -v59
	v_add_f32_e32 v28, v39, v28
	v_mul_f32_e32 v38, 0xbf6f5d39, v27
	v_fmac_f32_e32 v59, 0xbeb58ec6, v57
	v_add_f32_e32 v12, v18, v12
	v_add_f32_e32 v15, v25, v15
	v_mul_f32_e32 v18, 0x3f29c268, v50
	v_fmamk_f32 v25, v28, 0xbeb58ec6, v38
	v_fma_f32 v38, 0xbeb58ec6, v28, -v38
	v_mul_f32_e32 v39, 0x3f29c268, v27
	v_add_f32_e32 v13, v53, v13
	v_fma_f32 v53, 0xbf3f9e67, v57, -v18
	v_add_f32_e32 v14, v25, v14
	v_add_f32_e32 v25, v59, v31
	;; [unrolled: 1-line block ×3, first 2 shown]
	v_fmamk_f32 v31, v28, 0xbf3f9e67, v39
	v_mul_f32_e32 v38, 0x3eedf032, v50
	v_fmac_f32_e32 v18, 0xbf3f9e67, v57
	v_fma_f32 v39, 0xbf3f9e67, v28, -v39
	v_add_f32_e32 v21, v53, v21
	v_add_f32_e32 v26, v31, v26
	v_fma_f32 v53, 0x3f62ad3f, v57, -v38
	v_add_f32_e32 v18, v18, v22
	v_add_f32_e32 v22, v39, v30
	v_mul_f32_e32 v30, 0xbf7e222b, v50
	v_fmac_f32_e32 v38, 0x3f62ad3f, v57
	v_add_f32_e32 v46, v53, v46
	v_mul_f32_e32 v31, 0x3eedf032, v27
	v_add_f32_e32 v29, v61, v29
	v_fma_f32 v53, 0x3df6dbef, v57, -v30
	v_add_f32_e32 v38, v38, v40
	v_mul_f32_e32 v40, 0x3e750f2a, v50
	v_fmac_f32_e32 v30, 0x3df6dbef, v57
	v_fmamk_f32 v39, v28, 0x3f62ad3f, v31
	v_add_f32_e32 v19, v53, v19
	v_mul_f32_e32 v53, 0x3e750f2a, v27
	v_fma_f32 v55, 0xbf788fa5, v57, -v40
	v_add_f32_e32 v30, v30, v47
	v_fmac_f32_e32 v40, 0xbf788fa5, v57
	v_fma_f32 v31, 0x3f62ad3f, v28, -v31
	v_fmamk_f32 v47, v28, 0xbf788fa5, v53
	v_add_f32_e32 v39, v39, v41
	v_mul_f32_e32 v41, 0xbf7e222b, v27
	v_add_f32_e32 v17, v40, v17
	v_sub_f32_e32 v40, v1, v7
	v_add_f32_e32 v47, v47, v49
	v_fma_f32 v49, 0xbf788fa5, v28, -v53
	v_add_f32_e32 v31, v31, v48
	v_fmamk_f32 v48, v28, 0x3df6dbef, v41
	v_mul_f32_e32 v27, 0x3f52af12, v27
	v_add_f32_e32 v53, v6, v0
	v_add_f32_e32 v49, v49, v54
	v_mul_f32_e32 v54, 0xbf29c268, v40
	v_sub_f32_e32 v0, v0, v6
	v_add_f32_e32 v16, v48, v16
	v_add_f32_e32 v48, v55, v52
	v_fmamk_f32 v52, v28, 0x3f116cb1, v27
	v_fma_f32 v6, 0x3f116cb1, v28, -v27
	v_fma_f32 v27, 0xbf3f9e67, v53, -v54
	v_add_f32_e32 v1, v7, v1
	v_mul_f32_e32 v7, 0xbf29c268, v0
	v_fma_f32 v41, 0x3df6dbef, v28, -v41
	v_mul_f32_e32 v50, 0x3f52af12, v50
	v_add_f32_e32 v6, v6, v12
	v_add_f32_e32 v12, v27, v15
	v_fmamk_f32 v27, v1, 0xbf3f9e67, v7
	v_fma_f32 v7, 0xbf3f9e67, v1, -v7
	v_mul_f32_e32 v28, 0x3f7e222b, v0
	v_add_f32_e32 v41, v41, v51
	v_fma_f32 v51, 0x3f116cb1, v57, -v50
	v_fmac_f32_e32 v50, 0x3f116cb1, v57
	v_mul_f32_e32 v15, 0x3f7e222b, v40
	v_add_f32_e32 v7, v7, v23
	v_fmamk_f32 v23, v1, 0x3df6dbef, v28
	v_add_f32_e32 v14, v27, v14
	v_add_f32_e32 v13, v50, v13
	v_fma_f32 v50, 0x3df6dbef, v53, -v15
	v_mul_f32_e32 v27, 0xbf52af12, v40
	v_fmac_f32_e32 v15, 0x3df6dbef, v53
	v_fma_f32 v28, 0x3df6dbef, v1, -v28
	v_add_f32_e32 v23, v23, v26
	v_mul_f32_e32 v26, 0xbf52af12, v0
	v_add_f32_e32 v21, v50, v21
	v_fma_f32 v50, 0x3f116cb1, v53, -v27
	v_add_f32_e32 v15, v15, v18
	v_add_f32_e32 v18, v28, v22
	v_mul_f32_e32 v22, 0x3e750f2a, v40
	v_fmamk_f32 v28, v1, 0x3f116cb1, v26
	v_add_f32_e32 v46, v50, v46
	v_fmac_f32_e32 v27, 0x3f116cb1, v53
	v_fma_f32 v26, 0x3f116cb1, v1, -v26
	v_fma_f32 v50, 0xbf788fa5, v53, -v22
	v_add_f32_e32 v28, v28, v39
	v_mul_f32_e32 v39, 0x3e750f2a, v0
	v_add_f32_e32 v29, v58, v29
	v_add_f32_e32 v27, v27, v38
	;; [unrolled: 1-line block ×4, first 2 shown]
	v_mul_f32_e32 v31, 0x3eedf032, v40
	v_fmamk_f32 v38, v1, 0xbf788fa5, v39
	v_mul_f32_e32 v50, 0x3eedf032, v0
	v_add_f32_e32 v56, v56, v60
	v_add_f32_e32 v29, v52, v29
	v_fmac_f32_e32 v22, 0xbf788fa5, v53
	v_fma_f32 v39, 0xbf788fa5, v1, -v39
	v_fma_f32 v52, 0x3f62ad3f, v53, -v31
	v_add_f32_e32 v38, v38, v16
	v_fmamk_f32 v16, v1, 0x3f62ad3f, v50
	v_mul_f32_e32 v40, 0xbf6f5d39, v40
	v_add_f32_e32 v51, v51, v56
	v_add_f32_e32 v22, v22, v30
	;; [unrolled: 1-line block ×5, first 2 shown]
	v_fma_f32 v16, 0x3f62ad3f, v1, -v50
	v_fma_f32 v47, 0xbeb58ec6, v53, -v40
	v_sub_f32_e32 v48, v3, v5
	v_fmac_f32_e32 v31, 0x3f62ad3f, v53
	v_mul_f32_e32 v0, 0xbf6f5d39, v0
	v_add_f32_e32 v49, v16, v49
	v_add_f32_e32 v47, v47, v51
	;; [unrolled: 1-line block ×3, first 2 shown]
	v_mul_f32_e32 v16, 0xbe750f2a, v48
	v_sub_f32_e32 v51, v2, v4
	v_add_f32_e32 v31, v31, v17
	v_fmamk_f32 v17, v1, 0xbeb58ec6, v0
	v_fma_f32 v0, 0xbeb58ec6, v1, -v0
	v_fma_f32 v1, 0xbf788fa5, v50, -v16
	v_add_f32_e32 v52, v5, v3
	v_mul_f32_e32 v3, 0xbe750f2a, v51
	v_fmac_f32_e32 v54, 0xbf3f9e67, v53
	v_fmac_f32_e32 v40, 0xbeb58ec6, v53
	v_add_f32_e32 v53, v0, v6
	v_add_f32_e32 v2, v1, v12
	v_fmamk_f32 v0, v52, 0xbf788fa5, v3
	v_fma_f32 v1, 0xbf788fa5, v52, -v3
	v_mul_f32_e32 v5, 0x3eedf032, v51
	v_add_f32_e32 v25, v54, v25
	v_mul_f32_e32 v6, 0x3eedf032, v48
	v_fmac_f32_e32 v16, 0xbf788fa5, v50
	v_add_f32_e32 v3, v0, v14
	v_add_f32_e32 v1, v1, v7
	v_fmamk_f32 v7, v52, 0x3f62ad3f, v5
	v_mul_f32_e32 v14, 0xbf29c268, v48
	v_fma_f32 v12, 0x3f62ad3f, v52, -v5
	v_add_f32_e32 v40, v40, v13
	v_fma_f32 v4, 0x3f62ad3f, v50, -v6
	v_add_f32_e32 v0, v16, v25
	v_fmac_f32_e32 v6, 0x3f62ad3f, v50
	v_add_f32_e32 v5, v7, v23
	v_mul_f32_e32 v13, 0xbf29c268, v51
	v_fma_f32 v16, 0xbf3f9e67, v50, -v14
	v_add_f32_e32 v7, v12, v18
	v_mul_f32_e32 v18, 0x3f52af12, v48
	v_add_f32_e32 v29, v17, v29
	v_add_f32_e32 v4, v4, v21
	;; [unrolled: 1-line block ×3, first 2 shown]
	v_fmamk_f32 v15, v52, 0xbf3f9e67, v13
	v_add_f32_e32 v12, v16, v46
	v_fma_f32 v16, 0xbf3f9e67, v52, -v13
	v_fma_f32 v17, 0x3f116cb1, v50, -v18
	v_mul_f32_e32 v21, 0x3f52af12, v51
	v_add_f32_e32 v13, v15, v28
	v_mul_f32_e32 v23, 0xbf6f5d39, v48
	v_add_f32_e32 v15, v16, v26
	v_add_f32_e32 v16, v17, v19
	v_fma_f32 v19, 0x3f116cb1, v52, -v21
	v_fmac_f32_e32 v14, 0xbf3f9e67, v50
	v_fmamk_f32 v17, v52, 0x3f116cb1, v21
	v_fmac_f32_e32 v18, 0x3f116cb1, v50
	v_mul_f32_e32 v25, 0xbf6f5d39, v51
	v_fma_f32 v21, 0xbeb58ec6, v50, -v23
	v_add_f32_e32 v19, v19, v30
	v_fmac_f32_e32 v23, 0xbeb58ec6, v50
	v_mul_f32_e32 v30, 0x3f7e222b, v48
	v_add_f32_e32 v14, v14, v27
	v_mul_f32_e32 v27, 0x3f7e222b, v51
	v_add_f32_e32 v18, v18, v22
	v_fmamk_f32 v22, v52, 0xbeb58ec6, v25
	v_fma_f32 v26, 0xbeb58ec6, v52, -v25
	v_add_f32_e32 v25, v23, v31
	v_fma_f32 v23, 0x3df6dbef, v50, -v30
	v_fmamk_f32 v28, v52, 0x3df6dbef, v27
	v_fmac_f32_e32 v30, 0x3df6dbef, v50
	v_fma_f32 v31, 0x3df6dbef, v52, -v27
	v_add_f32_e32 v17, v17, v38
	v_add_f32_e32 v27, v23, v47
	v_mad_u32_u24 v23, 0x60, v34, v35
	v_add_f32_e32 v21, v21, v39
	v_add_f32_e32 v22, v22, v41
	;; [unrolled: 1-line block ×6, first 2 shown]
	ds_write2_b64 v23, v[8:9], v[2:3] offset1:1
	ds_write2_b64 v23, v[4:5], v[12:13] offset0:2 offset1:3
	ds_write2_b64 v23, v[16:17], v[21:22] offset0:4 offset1:5
	;; [unrolled: 1-line block ×5, first 2 shown]
	ds_write_b64 v23, v[0:1] offset:96
	s_waitcnt lgkmcnt(0)
	s_barrier
	buffer_gl0_inv
	ds_read2_b64 v[12:15], v35 offset0:78 offset1:169
	ds_read2_b64 v[16:19], v45 offset0:119 offset1:210
	;; [unrolled: 1-line block ×5, first 2 shown]
	ds_read_b64 v[38:39], v43
	ds_read_b64 v[40:41], v35 offset:7384
                                        ; implicit-def: $vgpr11
                                        ; implicit-def: $vgpr7
	s_and_saveexec_b32 s1, s0
	s_cbranch_execz .LBB0_23
; %bb.22:
	v_add_nc_u32_e32 v4, 0xe00, v35
	ds_read2_b64 v[0:3], v45 offset0:28 offset1:197
	ds_read2_b64 v[4:7], v4 offset0:46 offset1:215
	;; [unrolled: 1-line block ×3, first 2 shown]
.LBB0_23:
	s_or_b32 exec_lo, exec_lo, s1
	v_and_b32_e32 v45, 0xff, v34
	v_add_nc_u16 v55, v34, 0x4e
	v_mul_lo_u16 v45, 0x4f, v45
	v_and_b32_e32 v48, 0xff, v55
	v_lshrrev_b16 v46, 10, v45
	v_mov_b32_e32 v45, 5
	v_mul_lo_u16 v47, v46, 13
	v_and_b32_e32 v70, 0xffff, v46
	v_mov_b32_e32 v46, 3
	v_sub_nc_u16 v67, v34, v47
	v_mul_lo_u16 v47, 0x4f, v48
	v_mad_u32_u24 v70, 0x270, v70, 0
	v_mul_u32_u24_sdwa v48, v67, v45 dst_sel:DWORD dst_unused:UNUSED_PAD src0_sel:BYTE_0 src1_sel:DWORD
	v_lshrrev_b16 v68, 10, v47
	v_lshlrev_b32_sdwa v67, v46, v67 dst_sel:DWORD dst_unused:UNUSED_PAD src0_sel:DWORD src1_sel:BYTE_0
	v_lshlrev_b32_e32 v56, 3, v48
	v_mul_lo_u16 v57, v68, 13
	v_and_b32_e32 v68, 0xffff, v68
	v_add3_u32 v67, v70, v67, v44
	s_clause 0x1
	global_load_dwordx4 v[47:50], v56, s[12:13]
	global_load_dwordx4 v[51:54], v56, s[12:13] offset:16
	v_sub_nc_u16 v69, v55, v57
	global_load_dwordx2 v[63:64], v56, s[12:13] offset:32
	v_mad_u32_u24 v68, 0x270, v68, 0
	v_mul_u32_u24_sdwa v55, v69, v45 dst_sel:DWORD dst_unused:UNUSED_PAD src0_sel:BYTE_0 src1_sel:DWORD
	v_lshlrev_b32_sdwa v69, v46, v69 dst_sel:DWORD dst_unused:UNUSED_PAD src0_sel:DWORD src1_sel:BYTE_0
	v_lshlrev_b32_e32 v65, 3, v55
	v_add3_u32 v68, v68, v69, v44
	s_clause 0x2
	global_load_dwordx4 v[55:58], v65, s[12:13]
	global_load_dwordx4 v[59:62], v65, s[12:13] offset:16
	global_load_dwordx2 v[65:66], v65, s[12:13] offset:32
	s_waitcnt vmcnt(0) lgkmcnt(0)
	s_barrier
	buffer_gl0_inv
	v_mul_f32_e32 v69, v48, v15
	v_mul_f32_e32 v48, v48, v14
	;; [unrolled: 1-line block ×10, first 2 shown]
	v_fma_f32 v69, v47, v14, -v69
	v_fmac_f32_e32 v48, v47, v15
	v_fma_f32 v14, v49, v18, -v70
	v_fmac_f32_e32 v50, v49, v19
	;; [unrolled: 2-line block ×5, first 2 shown]
	v_mul_f32_e32 v22, v56, v17
	v_mul_f32_e32 v30, v56, v16
	;; [unrolled: 1-line block ×10, first 2 shown]
	v_fma_f32 v56, v55, v16, -v22
	v_fmac_f32_e32 v30, v55, v17
	v_fma_f32 v16, v57, v20, -v23
	v_fmac_f32_e32 v26, v57, v21
	;; [unrolled: 2-line block ×5, first 2 shown]
	v_add_f32_e32 v23, v14, v18
	v_add_f32_e32 v28, v69, v15
	;; [unrolled: 1-line block ×5, first 2 shown]
	v_sub_f32_e32 v24, v50, v54
	v_add_f32_e32 v25, v39, v50
	v_add_f32_e32 v27, v50, v54
	v_sub_f32_e32 v40, v52, v64
	v_add_f32_e32 v41, v48, v52
	v_sub_f32_e32 v15, v15, v19
	v_fma_f32 v38, -0.5, v23, v38
	v_add_f32_e32 v19, v28, v19
	v_fmac_f32_e32 v69, -0.5, v29
	v_sub_f32_e32 v28, v26, v49
	v_add_f32_e32 v29, v13, v26
	v_add_f32_e32 v26, v26, v49
	v_add_f32_e32 v50, v17, v21
	v_sub_f32_e32 v51, v31, v53
	v_add_f32_e32 v52, v30, v31
	v_add_f32_e32 v31, v31, v53
	v_fmac_f32_e32 v48, -0.5, v47
	v_sub_f32_e32 v14, v14, v18
	v_add_f32_e32 v18, v22, v18
	v_add_f32_e32 v22, v25, v54
	;; [unrolled: 1-line block ×3, first 2 shown]
	v_sub_f32_e32 v41, v16, v20
	v_add_f32_e32 v47, v56, v17
	v_sub_f32_e32 v54, v17, v21
	v_fmamk_f32 v55, v24, 0x3f5db3d7, v38
	v_fmac_f32_e32 v38, 0xbf5db3d7, v24
	v_fmamk_f32 v24, v40, 0x3f5db3d7, v69
	v_fmac_f32_e32 v13, -0.5, v26
	v_fmac_f32_e32 v56, -0.5, v50
	;; [unrolled: 1-line block ×4, first 2 shown]
	v_add_f32_e32 v27, v16, v20
	v_fmac_f32_e32 v69, 0xbf5db3d7, v40
	v_fmamk_f32 v40, v15, 0xbf5db3d7, v48
	v_fmac_f32_e32 v48, 0x3f5db3d7, v15
	v_add_f32_e32 v15, v22, v23
	v_sub_f32_e32 v17, v22, v23
	v_add_f32_e32 v22, v29, v49
	v_mul_f32_e32 v29, 0xbf5db3d7, v24
	v_fmamk_f32 v49, v41, 0xbf5db3d7, v13
	v_fmac_f32_e32 v13, 0x3f5db3d7, v41
	v_fmamk_f32 v41, v51, 0x3f5db3d7, v56
	v_fmamk_f32 v50, v54, 0xbf5db3d7, v30
	v_add_f32_e32 v25, v12, v16
	v_fma_f32 v12, -0.5, v27, v12
	v_mul_f32_e32 v27, -0.5, v69
	v_fmac_f32_e32 v56, 0xbf5db3d7, v51
	v_fmac_f32_e32 v30, 0x3f5db3d7, v54
	v_mul_f32_e32 v26, 0x3f5db3d7, v40
	v_mul_f32_e32 v31, -0.5, v48
	v_fmac_f32_e32 v29, 0.5, v40
	v_mul_f32_e32 v40, 0x3f5db3d7, v50
	v_mul_f32_e32 v51, 0xbf5db3d7, v41
	v_add_f32_e32 v23, v52, v53
	v_fmac_f32_e32 v27, 0x3f5db3d7, v48
	v_mul_f32_e32 v48, -0.5, v56
	v_mul_f32_e32 v52, -0.5, v30
	v_fmamk_f32 v57, v14, 0xbf5db3d7, v39
	v_add_f32_e32 v20, v25, v20
	v_add_f32_e32 v21, v47, v21
	v_fmac_f32_e32 v26, 0.5, v24
	v_fmac_f32_e32 v39, 0x3f5db3d7, v14
	v_fmac_f32_e32 v31, 0xbf5db3d7, v69
	v_fmamk_f32 v47, v28, 0x3f5db3d7, v12
	v_fmac_f32_e32 v40, 0.5, v41
	v_fmac_f32_e32 v51, 0.5, v50
	v_fmac_f32_e32 v12, 0xbf5db3d7, v28
	v_fmac_f32_e32 v48, 0x3f5db3d7, v30
	;; [unrolled: 1-line block ×3, first 2 shown]
	v_add_f32_e32 v14, v18, v19
	v_sub_f32_e32 v16, v18, v19
	v_add_f32_e32 v18, v20, v21
	v_add_f32_e32 v19, v22, v23
	v_sub_f32_e32 v20, v20, v21
	v_sub_f32_e32 v21, v22, v23
	v_add_f32_e32 v22, v55, v26
	v_add_f32_e32 v23, v57, v29
	;; [unrolled: 1-line block ×4, first 2 shown]
	v_sub_f32_e32 v26, v55, v26
	v_sub_f32_e32 v28, v38, v27
	;; [unrolled: 1-line block ×4, first 2 shown]
	v_add_f32_e32 v30, v47, v40
	v_add_f32_e32 v31, v49, v51
	;; [unrolled: 1-line block ×4, first 2 shown]
	v_sub_f32_e32 v40, v47, v40
	v_sub_f32_e32 v12, v12, v48
	;; [unrolled: 1-line block ×4, first 2 shown]
	ds_write2_b64 v67, v[14:15], v[22:23] offset1:13
	ds_write2_b64 v67, v[24:25], v[16:17] offset0:26 offset1:39
	ds_write2_b64 v67, v[26:27], v[28:29] offset0:52 offset1:65
	ds_write2_b64 v68, v[18:19], v[30:31] offset1:13
	ds_write2_b64 v68, v[38:39], v[20:21] offset0:26 offset1:39
	ds_write2_b64 v68, v[40:41], v[12:13] offset0:52 offset1:65
	s_and_saveexec_b32 s1, s0
	s_cbranch_execz .LBB0_25
; %bb.24:
	v_add_nc_u16 v12, v34, 0x9c
	v_and_b32_e32 v13, 0xff, v12
	v_mul_lo_u16 v13, 0x4f, v13
	v_lshrrev_b16 v13, 10, v13
	v_mul_lo_u16 v13, v13, 13
	v_sub_nc_u16 v22, v12, v13
	v_mul_u32_u24_sdwa v12, v22, v45 dst_sel:DWORD dst_unused:UNUSED_PAD src0_sel:BYTE_0 src1_sel:DWORD
	v_lshlrev_b32_sdwa v22, v46, v22 dst_sel:DWORD dst_unused:UNUSED_PAD src0_sel:DWORD src1_sel:BYTE_0
	v_lshlrev_b32_e32 v20, 3, v12
	v_add3_u32 v22, 0, v22, v44
	s_clause 0x2
	global_load_dwordx4 v[12:15], v20, s[12:13]
	global_load_dwordx4 v[16:19], v20, s[12:13] offset:16
	global_load_dwordx2 v[20:21], v20, s[12:13] offset:32
	v_add_nc_u32_e32 v22, 0x1800, v22
	s_waitcnt vmcnt(2)
	v_mul_f32_e32 v23, v5, v15
	s_waitcnt vmcnt(1)
	v_mul_f32_e32 v24, v9, v19
	v_mul_f32_e32 v15, v4, v15
	;; [unrolled: 1-line block ×4, first 2 shown]
	s_waitcnt vmcnt(0)
	v_mul_f32_e32 v27, v11, v21
	v_mul_f32_e32 v17, v6, v17
	;; [unrolled: 1-line block ×5, first 2 shown]
	v_fmac_f32_e32 v15, v5, v14
	v_fmac_f32_e32 v19, v9, v18
	v_fma_f32 v5, v6, v16, -v26
	v_fma_f32 v6, v10, v20, -v27
	v_fmac_f32_e32 v17, v7, v16
	v_fmac_f32_e32 v21, v11, v20
	v_fma_f32 v4, v4, v14, -v23
	v_fma_f32 v8, v8, v18, -v24
	;; [unrolled: 1-line block ×3, first 2 shown]
	v_fmac_f32_e32 v13, v3, v12
	v_add_f32_e32 v7, v15, v19
	v_add_f32_e32 v9, v5, v6
	;; [unrolled: 1-line block ×3, first 2 shown]
	v_sub_f32_e32 v3, v4, v8
	v_sub_f32_e32 v10, v17, v21
	;; [unrolled: 1-line block ×3, first 2 shown]
	v_add_f32_e32 v14, v1, v15
	v_add_f32_e32 v16, v13, v17
	;; [unrolled: 1-line block ×5, first 2 shown]
	v_fma_f32 v18, -0.5, v7, v1
	v_fma_f32 v7, -0.5, v9, v2
	;; [unrolled: 1-line block ×3, first 2 shown]
	v_add_f32_e32 v9, v14, v19
	v_add_f32_e32 v12, v16, v21
	;; [unrolled: 1-line block ×3, first 2 shown]
	v_fmamk_f32 v8, v10, 0xbf5db3d7, v7
	v_fmamk_f32 v14, v11, 0x3f5db3d7, v2
	v_fmac_f32_e32 v2, 0xbf5db3d7, v11
	v_fmac_f32_e32 v7, 0x3f5db3d7, v10
	v_sub_f32_e32 v15, v15, v19
	v_fma_f32 v13, -0.5, v17, v0
	v_add_f32_e32 v5, v5, v6
	v_fmamk_f32 v6, v3, 0x3f5db3d7, v18
	v_fmac_f32_e32 v18, 0xbf5db3d7, v3
	v_sub_f32_e32 v1, v9, v12
	v_mul_f32_e32 v10, -0.5, v14
	v_mul_f32_e32 v11, 0xbf5db3d7, v7
	v_add_f32_e32 v3, v9, v12
	v_mul_f32_e32 v12, 0x3f5db3d7, v2
	v_fmamk_f32 v16, v15, 0xbf5db3d7, v13
	v_fmac_f32_e32 v13, 0x3f5db3d7, v15
	v_mul_f32_e32 v15, -0.5, v8
	v_fmac_f32_e32 v10, 0xbf5db3d7, v8
	v_fmac_f32_e32 v11, 0.5, v2
	v_fmac_f32_e32 v12, 0.5, v7
	v_sub_f32_e32 v0, v4, v5
	v_fmac_f32_e32 v15, 0x3f5db3d7, v14
	v_add_f32_e32 v2, v4, v5
	v_sub_f32_e32 v5, v6, v10
	v_sub_f32_e32 v7, v18, v11
	v_add_f32_e32 v9, v6, v10
	v_add_f32_e32 v11, v18, v11
	;; [unrolled: 1-line block ×4, first 2 shown]
	v_sub_f32_e32 v4, v16, v15
	v_sub_f32_e32 v6, v13, v12
	ds_write2_b64 v22, v[2:3], v[10:11] offset0:168 offset1:181
	ds_write2_b64 v22, v[8:9], v[0:1] offset0:194 offset1:207
	;; [unrolled: 1-line block ×3, first 2 shown]
.LBB0_25:
	s_or_b32 exec_lo, exec_lo, s1
	v_mul_u32_u24_e32 v0, 12, v34
	s_waitcnt lgkmcnt(0)
	s_barrier
	buffer_gl0_inv
	v_add_nc_u32_e32 v4, 0x800, v35
	v_lshlrev_b32_e32 v0, 3, v0
	v_add_nc_u32_e32 v3, 0x1000, v35
	v_add_nc_u32_e32 v2, 0x1800, v35
	s_clause 0x5
	global_load_dwordx4 v[14:17], v0, s[12:13] offset:520
	global_load_dwordx4 v[18:21], v0, s[12:13] offset:536
	;; [unrolled: 1-line block ×6, first 2 shown]
	v_add_nc_u32_e32 v0, 0x400, v35
	ds_read2_b64 v[52:55], v35 offset0:78 offset1:156
	ds_read2_b64 v[60:63], v4 offset0:134 offset1:212
	;; [unrolled: 1-line block ×4, first 2 shown]
	v_add_nc_u32_e32 v0, 0x1400, v35
	ds_read2_b64 v[68:71], v0 offset0:62 offset1:140
	ds_read_b64 v[0:1], v43
	ds_read2_b64 v[72:75], v2 offset0:90 offset1:168
	s_waitcnt vmcnt(0) lgkmcnt(0)
	s_barrier
	buffer_gl0_inv
	v_mul_f32_e32 v43, v15, v52
	v_mul_f32_e32 v7, v15, v53
	;; [unrolled: 1-line block ×17, first 2 shown]
	v_fmac_f32_e32 v43, v14, v53
	v_mul_f32_e32 v8, v17, v55
	v_mul_f32_e32 v15, v19, v57
	;; [unrolled: 1-line block ×7, first 2 shown]
	v_fma_f32 v51, v14, v52, -v7
	v_fmac_f32_e32 v25, v16, v55
	v_fma_f32 v7, v62, v29, -v31
	v_fma_f32 v14, v74, v50, -v49
	v_fmac_f32_e32 v13, v75, v50
	v_fmac_f32_e32 v12, v73, v48
	v_add_f32_e32 v31, v43, v1
	v_fma_f32 v28, v16, v54, -v8
	v_fma_f32 v24, v18, v56, -v15
	v_fmac_f32_e32 v23, v18, v57
	v_fma_f32 v22, v20, v58, -v17
	v_fmac_f32_e32 v21, v20, v59
	;; [unrolled: 2-line block ×3, first 2 shown]
	v_fmac_f32_e32 v5, v63, v29
	v_fma_f32 v8, v64, v38, -v30
	v_fma_f32 v18, v66, v40, -v39
	v_fmac_f32_e32 v11, v67, v40
	v_fma_f32 v17, v68, v44, -v41
	v_fmac_f32_e32 v9, v69, v44
	;; [unrolled: 2-line block ×3, first 2 shown]
	v_fma_f32 v15, v72, v48, -v47
	v_add_f32_e32 v30, v51, v0
	v_add_f32_e32 v27, v43, v13
	v_sub_f32_e32 v39, v51, v14
	v_sub_f32_e32 v40, v43, v13
	v_add_f32_e32 v29, v25, v12
	v_sub_f32_e32 v43, v25, v12
	v_add_f32_e32 v25, v31, v25
	v_fmac_f32_e32 v6, v65, v38
	v_add_f32_e32 v26, v51, v14
	v_add_f32_e32 v38, v28, v15
	v_sub_f32_e32 v41, v28, v15
	v_sub_f32_e32 v44, v23, v10
	;; [unrolled: 1-line block ×3, first 2 shown]
	v_add_f32_e32 v47, v23, v10
	v_sub_f32_e32 v48, v21, v9
	v_sub_f32_e32 v50, v22, v17
	v_add_f32_e32 v28, v30, v28
	v_mul_f32_e32 v30, 0xbeedf032, v40
	v_mul_f32_e32 v31, 0xbeedf032, v39
	;; [unrolled: 1-line block ×12, first 2 shown]
	v_add_f32_e32 v23, v25, v23
	v_add_f32_e32 v45, v24, v16
	;; [unrolled: 1-line block ×4, first 2 shown]
	v_mul_f32_e32 v61, 0xbf52af12, v43
	v_mul_f32_e32 v62, 0xbf52af12, v41
	;; [unrolled: 1-line block ×36, first 2 shown]
	v_fma_f32 v91, 0x3f62ad3f, v26, -v30
	v_fmamk_f32 v92, v27, 0x3f62ad3f, v31
	v_fmac_f32_e32 v30, 0x3f62ad3f, v26
	v_fma_f32 v31, 0x3f62ad3f, v27, -v31
	v_fma_f32 v93, 0x3f116cb1, v26, -v53
	v_fmamk_f32 v94, v27, 0x3f116cb1, v54
	v_fmac_f32_e32 v53, 0x3f116cb1, v26
	v_fma_f32 v54, 0x3f116cb1, v27, -v54
	;; [unrolled: 4-line block ×6, first 2 shown]
	v_add_f32_e32 v21, v23, v21
	v_fma_f32 v27, 0x3f116cb1, v38, -v61
	v_fmamk_f32 v39, v29, 0x3f116cb1, v62
	v_fmac_f32_e32 v61, 0x3f116cb1, v38
	v_fma_f32 v62, 0x3f116cb1, v29, -v62
	v_fma_f32 v103, 0xbeb58ec6, v38, -v63
	v_fmamk_f32 v104, v29, 0xbeb58ec6, v64
	v_fmac_f32_e32 v63, 0xbeb58ec6, v38
	v_fma_f32 v64, 0xbeb58ec6, v29, -v64
	v_fma_f32 v105, 0xbf788fa5, v38, -v65
	v_fmamk_f32 v106, v29, 0xbf788fa5, v66
	v_fmac_f32_e32 v65, 0xbf788fa5, v38
	v_fma_f32 v66, 0xbf788fa5, v29, -v66
	v_fma_f32 v107, 0xbf3f9e67, v38, -v67
	v_fmamk_f32 v108, v29, 0xbf3f9e67, v68
	v_fmac_f32_e32 v67, 0xbf3f9e67, v38
	v_fma_f32 v68, 0xbf3f9e67, v29, -v68
	v_fma_f32 v109, 0x3df6dbef, v38, -v69
	v_fmac_f32_e32 v69, 0x3df6dbef, v38
	v_fma_f32 v110, 0x3f62ad3f, v38, -v43
	v_fmac_f32_e32 v43, 0x3f62ad3f, v38
	v_fmamk_f32 v38, v29, 0x3df6dbef, v70
	v_fma_f32 v70, 0x3df6dbef, v29, -v70
	v_fmamk_f32 v111, v29, 0x3f62ad3f, v41
	v_fma_f32 v29, 0x3f62ad3f, v29, -v41
	v_fma_f32 v41, 0x3df6dbef, v45, -v71
	v_fmac_f32_e32 v71, 0x3df6dbef, v45
	v_fma_f32 v112, 0xbf788fa5, v45, -v72
	v_fmac_f32_e32 v72, 0xbf788fa5, v45
	;; [unrolled: 2-line block ×6, first 2 shown]
	v_add_f32_e32 v24, v28, v24
	v_fmamk_f32 v25, v47, 0x3df6dbef, v76
	v_fma_f32 v28, 0x3df6dbef, v47, -v76
	v_fmamk_f32 v45, v47, 0xbf788fa5, v77
	v_fma_f32 v76, 0xbf788fa5, v47, -v77
	;; [unrolled: 2-line block ×6, first 2 shown]
	v_fma_f32 v47, 0xbeb58ec6, v49, -v81
	v_fmac_f32_e32 v81, 0xbeb58ec6, v49
	v_fma_f32 v120, 0xbf3f9e67, v49, -v82
	v_fmac_f32_e32 v82, 0xbf3f9e67, v49
	;; [unrolled: 2-line block ×6, first 2 shown]
	v_fmamk_f32 v49, v51, 0xbeb58ec6, v86
	v_fma_f32 v86, 0xbeb58ec6, v51, -v86
	v_fmamk_f32 v125, v51, 0xbf3f9e67, v87
	v_fma_f32 v87, 0xbf3f9e67, v51, -v87
	;; [unrolled: 2-line block ×4, first 2 shown]
	v_add_f32_e32 v91, v91, v0
	v_add_f32_e32 v92, v92, v1
	;; [unrolled: 1-line block ×24, first 2 shown]
	v_fmamk_f32 v26, v51, 0xbf788fa5, v90
	v_fma_f32 v40, 0xbf788fa5, v51, -v90
	v_fmamk_f32 v90, v51, 0x3f116cb1, v50
	v_fma_f32 v50, 0x3f116cb1, v51, -v50
	v_sub_f32_e32 v51, v19, v11
	v_add_f32_e32 v23, v19, v11
	v_add_f32_e32 v19, v21, v19
	;; [unrolled: 1-line block ×5, first 2 shown]
	v_sub_f32_e32 v24, v20, v18
	v_add_f32_e32 v19, v19, v5
	v_add_f32_e32 v1, v46, v1
	;; [unrolled: 1-line block ×20, first 2 shown]
	v_mul_f32_e32 v91, 0xbf29c268, v51
	v_mul_f32_e32 v62, 0x3f7e222b, v24
	v_add_f32_e32 v53, v63, v53
	v_mul_f32_e32 v64, 0x3e750f2a, v24
	v_add_f32_e32 v95, v105, v95
	;; [unrolled: 2-line block ×3, first 2 shown]
	v_add_f32_e32 v97, v107, v97
	v_add_f32_e32 v57, v67, v57
	;; [unrolled: 1-line block ×18, first 2 shown]
	v_mul_f32_e32 v92, 0xbf29c268, v24
	v_mul_f32_e32 v61, 0x3f7e222b, v51
	v_add_f32_e32 v93, v103, v93
	v_mul_f32_e32 v103, 0xbf52af12, v51
	v_mul_f32_e32 v104, 0xbf52af12, v24
	v_mul_f32_e32 v63, 0x3e750f2a, v51
	v_fma_f32 v65, 0xbf3f9e67, v52, -v91
	v_fmac_f32_e32 v91, 0xbf3f9e67, v52
	v_fmamk_f32 v108, v23, 0x3df6dbef, v62
	v_fma_f32 v62, 0x3df6dbef, v23, -v62
	v_fmamk_f32 v100, v23, 0xbf788fa5, v64
	v_fma_f32 v69, 0x3f62ad3f, v52, -v105
	v_add_f32_e32 v30, v72, v53
	v_add_f32_e32 v39, v113, v95
	;; [unrolled: 1-line block ×15, first 2 shown]
	v_mul_f32_e32 v10, 0xbf6f5d39, v51
	v_fmac_f32_e32 v105, 0x3f62ad3f, v52
	v_add_f32_e32 v96, v106, v96
	v_mul_f32_e32 v106, 0x3eedf032, v24
	v_fmamk_f32 v66, v23, 0xbf3f9e67, v92
	v_fma_f32 v107, 0x3df6dbef, v52, -v61
	v_fmac_f32_e32 v61, 0x3df6dbef, v52
	v_fma_f32 v67, 0x3f116cb1, v52, -v103
	v_fmamk_f32 v68, v23, 0x3f116cb1, v104
	v_fma_f32 v104, 0x3f116cb1, v23, -v104
	v_add_f32_e32 v99, v109, v99
	v_fma_f32 v109, 0xbf788fa5, v52, -v63
	v_fmac_f32_e32 v63, 0xbf788fa5, v52
	v_add_f32_e32 v21, v47, v21
	v_add_f32_e32 v22, v49, v22
	;; [unrolled: 1-line block ×14, first 2 shown]
	v_fma_f32 v12, 0xbeb58ec6, v52, -v10
	v_mul_f32_e32 v13, 0xbf6f5d39, v24
	v_add_f32_e32 v24, v105, v38
	v_sub_f32_e32 v38, v5, v6
	v_sub_f32_e32 v46, v7, v8
	v_add_f32_e32 v18, v66, v22
	v_add_f32_e32 v17, v108, v29
	;; [unrolled: 1-line block ×10, first 2 shown]
	v_mul_f32_e32 v12, 0xbe750f2a, v38
	v_fmac_f32_e32 v10, 0xbeb58ec6, v52
	v_fma_f32 v7, 0xbeb58ec6, v23, -v13
	v_add_f32_e32 v47, v5, v6
	v_mul_f32_e32 v6, 0xbe750f2a, v46
	v_add_f32_e32 v101, v111, v102
	v_fmamk_f32 v9, v23, 0x3f62ad3f, v106
	v_fma_f32 v5, 0xbf788fa5, v45, -v12
	v_add_f32_e32 v48, v10, v48
	v_add_f32_e32 v50, v7, v50
	v_fmamk_f32 v7, v47, 0xbf788fa5, v6
	v_fmac_f32_e32 v12, 0xbf788fa5, v45
	v_mul_f32_e32 v10, 0x3eedf032, v46
	v_add_f32_e32 v28, v112, v93
	v_add_f32_e32 v41, v77, v96
	;; [unrolled: 1-line block ×7, first 2 shown]
	v_fma_f32 v9, 0x3f62ad3f, v23, -v106
	v_fma_f32 v8, 0xbf788fa5, v47, -v6
	v_add_f32_e32 v6, v7, v18
	v_add_f32_e32 v7, v12, v19
	v_fmamk_f32 v12, v47, 0x3f62ad3f, v10
	v_mul_f32_e32 v15, 0xbf29c268, v38
	v_fma_f32 v92, 0xbf3f9e67, v23, -v92
	v_fmac_f32_e32 v103, 0x3f116cb1, v52
	v_fma_f32 v64, 0xbf788fa5, v23, -v64
	v_add_f32_e32 v57, v115, v99
	v_add_f32_e32 v27, v86, v27
	;; [unrolled: 1-line block ×9, first 2 shown]
	v_fmamk_f32 v9, v23, 0xbeb58ec6, v13
	v_add_f32_e32 v5, v5, v11
	v_mul_f32_e32 v11, 0x3eedf032, v38
	v_fma_f32 v13, 0x3f62ad3f, v47, -v10
	v_add_f32_e32 v10, v12, v17
	v_fma_f32 v14, 0xbf3f9e67, v45, -v15
	v_mul_f32_e32 v17, 0xbf29c268, v46
	v_add_f32_e32 v53, v123, v57
	v_add_f32_e32 v20, v92, v27
	;; [unrolled: 1-line block ×7, first 2 shown]
	v_fma_f32 v9, 0x3f62ad3f, v45, -v11
	v_fmac_f32_e32 v11, 0x3f62ad3f, v45
	v_add_f32_e32 v12, v13, v25
	v_add_f32_e32 v13, v14, v16
	v_fmamk_f32 v14, v47, 0xbf3f9e67, v17
	v_fmac_f32_e32 v15, 0xbf3f9e67, v45
	v_fma_f32 v16, 0xbf3f9e67, v47, -v17
	v_mul_f32_e32 v18, 0x3f52af12, v46
	v_mul_f32_e32 v23, 0xbf6f5d39, v38
	v_mul_f32_e32 v25, 0xbf6f5d39, v46
	v_mul_f32_e32 v19, 0x3f52af12, v38
	v_add_f32_e32 v43, v69, v53
	v_add_f32_e32 v8, v8, v20
	;; [unrolled: 1-line block ×7, first 2 shown]
	v_fmamk_f32 v20, v47, 0x3f116cb1, v18
	v_fma_f32 v21, 0x3f116cb1, v47, -v18
	v_fma_f32 v22, 0xbeb58ec6, v45, -v23
	v_fmamk_f32 v27, v47, 0xbeb58ec6, v25
	v_fmac_f32_e32 v23, 0xbeb58ec6, v45
	v_mul_f32_e32 v28, 0x3f7e222b, v38
	v_mul_f32_e32 v29, 0x3f7e222b, v46
	v_fma_f32 v17, 0x3f116cb1, v45, -v19
	v_add_f32_e32 v18, v20, v31
	v_add_f32_e32 v20, v21, v41
	;; [unrolled: 1-line block ×5, first 2 shown]
	v_fma_f32 v24, 0xbeb58ec6, v47, -v25
	v_fma_f32 v25, 0x3df6dbef, v45, -v28
	v_fmamk_f32 v26, v47, 0x3df6dbef, v29
	v_fmac_f32_e32 v28, 0x3df6dbef, v45
	v_fma_f32 v29, 0x3df6dbef, v47, -v29
	v_fmac_f32_e32 v19, 0x3f116cb1, v45
	v_add_f32_e32 v17, v17, v30
	v_add_f32_e32 v25, v25, v44
	;; [unrolled: 1-line block ×5, first 2 shown]
	v_add_nc_u32_e32 v29, 0xc00, v35
	v_add_f32_e32 v19, v19, v39
	v_add_f32_e32 v24, v24, v40
	ds_write2_b64 v35, v[0:1], v[5:6] offset1:78
	ds_write2_b64 v35, v[9:10], v[13:14] offset0:156 offset1:234
	ds_write2_b64 v4, v[17:18], v[21:22] offset0:56 offset1:134
	ds_write2_b64 v29, v[25:26], v[27:28] offset0:84 offset1:162
	ds_write2_b64 v3, v[23:24], v[19:20] offset0:112 offset1:190
	ds_write2_b64 v2, v[15:16], v[11:12] offset0:12 offset1:90
	ds_write_b64 v35, v[7:8] offset:7488
	s_waitcnt lgkmcnt(0)
	s_barrier
	buffer_gl0_inv
	s_and_saveexec_b32 s0, vcc_lo
	s_cbranch_execz .LBB0_27
; %bb.26:
	v_mul_lo_u32 v0, s3, v36
	v_mul_lo_u32 v1, s2, v37
	v_mad_u64_u32 v[4:5], null, s2, v36, 0
	v_mov_b32_e32 v35, 0
	v_lshlrev_b64 v[8:9], 3, v[32:33]
	v_lshl_add_u32 v22, v34, 3, v42
	v_add_nc_u32_e32 v10, 0x4e, v34
	v_add_nc_u32_e32 v12, 0x9c, v34
	v_mov_b32_e32 v11, v35
	v_add3_u32 v5, v5, v1, v0
	v_lshlrev_b64 v[16:17], 3, v[34:35]
	ds_read2_b64 v[0:3], v22 offset1:78
	v_mov_b32_e32 v13, v35
	v_lshlrev_b64 v[10:11], 3, v[10:11]
	v_lshlrev_b64 v[14:15], 3, v[4:5]
	ds_read2_b64 v[4:7], v22 offset0:156 offset1:234
	v_add_nc_u32_e32 v20, 0x138, v34
	v_mov_b32_e32 v21, v35
	v_add_co_u32 v14, vcc_lo, s10, v14
	v_add_co_ci_u32_e32 v15, vcc_lo, s11, v15, vcc_lo
	v_add_co_u32 v23, vcc_lo, v14, v8
	v_add_co_ci_u32_e32 v24, vcc_lo, v15, v9, vcc_lo
	v_lshlrev_b64 v[8:9], 3, v[12:13]
	v_add_co_u32 v12, vcc_lo, v23, v16
	v_add_co_ci_u32_e32 v13, vcc_lo, v24, v17, vcc_lo
	v_add_co_u32 v14, vcc_lo, v23, v10
	v_add_nc_u32_e32 v10, 0x800, v22
	v_add_co_ci_u32_e32 v15, vcc_lo, v24, v11, vcc_lo
	v_add_co_u32 v18, vcc_lo, v23, v8
	v_add_nc_u32_e32 v16, 0xea, v34
	v_mov_b32_e32 v17, v35
	v_add_co_ci_u32_e32 v19, vcc_lo, v24, v9, vcc_lo
	ds_read2_b64 v[8:11], v10 offset0:56 offset1:134
	s_waitcnt lgkmcnt(2)
	global_store_dwordx2 v[12:13], v[0:1], off
	global_store_dwordx2 v[14:15], v[2:3], off
	s_waitcnt lgkmcnt(1)
	global_store_dwordx2 v[18:19], v[4:5], off
	v_lshlrev_b64 v[16:17], 3, v[16:17]
	v_lshlrev_b64 v[0:1], 3, v[20:21]
	v_add_nc_u32_e32 v14, 0xc00, v22
	v_add_nc_u32_e32 v4, 0x186, v34
	v_mov_b32_e32 v5, v35
	v_add_nc_u32_e32 v12, 0x1d4, v34
	v_add_co_u32 v2, vcc_lo, v23, v16
	v_add_co_ci_u32_e32 v3, vcc_lo, v24, v17, vcc_lo
	v_add_co_u32 v0, vcc_lo, v23, v0
	v_add_co_ci_u32_e32 v1, vcc_lo, v24, v1, vcc_lo
	global_store_dwordx2 v[2:3], v[6:7], off
	s_waitcnt lgkmcnt(0)
	global_store_dwordx2 v[0:1], v[8:9], off
	v_mov_b32_e32 v13, v35
	ds_read2_b64 v[0:3], v14 offset0:84 offset1:162
	v_lshlrev_b64 v[4:5], 3, v[4:5]
	v_add_nc_u32_e32 v8, 0x222, v34
	v_mov_b32_e32 v9, v35
	v_lshlrev_b64 v[6:7], 3, v[12:13]
	v_add_nc_u32_e32 v12, 0x270, v34
	v_add_nc_u32_e32 v14, 0x1000, v22
	v_add_co_u32 v4, vcc_lo, v23, v4
	v_lshlrev_b64 v[8:9], 3, v[8:9]
	v_add_co_ci_u32_e32 v5, vcc_lo, v24, v5, vcc_lo
	v_add_co_u32 v6, vcc_lo, v23, v6
	v_add_co_ci_u32_e32 v7, vcc_lo, v24, v7, vcc_lo
	v_add_co_u32 v8, vcc_lo, v23, v8
	v_add_co_ci_u32_e32 v9, vcc_lo, v24, v9, vcc_lo
	global_store_dwordx2 v[4:5], v[10:11], off
	s_waitcnt lgkmcnt(0)
	global_store_dwordx2 v[6:7], v[0:1], off
	global_store_dwordx2 v[8:9], v[2:3], off
	v_lshlrev_b64 v[4:5], 3, v[12:13]
	ds_read2_b64 v[0:3], v14 offset0:112 offset1:190
	v_add_nc_u32_e32 v6, 0x2be, v34
	v_mov_b32_e32 v7, v35
	v_add_nc_u32_e32 v14, 0x1800, v22
	v_add_nc_u32_e32 v8, 0x30c, v34
	v_mov_b32_e32 v9, v35
	v_add_co_u32 v10, vcc_lo, v23, v4
	v_add_co_ci_u32_e32 v11, vcc_lo, v24, v5, vcc_lo
	v_lshlrev_b64 v[12:13], 3, v[6:7]
	ds_read2_b64 v[4:7], v14 offset0:12 offset1:90
	v_add_nc_u32_e32 v14, 0x35a, v34
	v_mov_b32_e32 v15, v35
	ds_read_b64 v[16:17], v22 offset:7488
	v_lshlrev_b64 v[8:9], 3, v[8:9]
	v_add_nc_u32_e32 v34, 0x3a8, v34
	v_add_co_u32 v12, vcc_lo, v23, v12
	v_lshlrev_b64 v[14:15], 3, v[14:15]
	v_add_co_ci_u32_e32 v13, vcc_lo, v24, v13, vcc_lo
	v_add_co_u32 v8, vcc_lo, v23, v8
	v_lshlrev_b64 v[18:19], 3, v[34:35]
	v_add_co_ci_u32_e32 v9, vcc_lo, v24, v9, vcc_lo
	v_add_co_u32 v14, vcc_lo, v23, v14
	v_add_co_ci_u32_e32 v15, vcc_lo, v24, v15, vcc_lo
	v_add_co_u32 v18, vcc_lo, v23, v18
	v_add_co_ci_u32_e32 v19, vcc_lo, v24, v19, vcc_lo
	s_waitcnt lgkmcnt(2)
	global_store_dwordx2 v[10:11], v[0:1], off
	global_store_dwordx2 v[12:13], v[2:3], off
	s_waitcnt lgkmcnt(1)
	global_store_dwordx2 v[8:9], v[4:5], off
	global_store_dwordx2 v[14:15], v[6:7], off
	s_waitcnt lgkmcnt(0)
	global_store_dwordx2 v[18:19], v[16:17], off
.LBB0_27:
	s_endpgm
	.section	.rodata,"a",@progbits
	.p2align	6, 0x0
	.amdhsa_kernel fft_rtc_fwd_len1014_factors_13_6_13_wgs_156_tpt_78_sp_op_CI_CI_unitstride_sbrr_C2R_dirReg
		.amdhsa_group_segment_fixed_size 0
		.amdhsa_private_segment_fixed_size 0
		.amdhsa_kernarg_size 104
		.amdhsa_user_sgpr_count 6
		.amdhsa_user_sgpr_private_segment_buffer 1
		.amdhsa_user_sgpr_dispatch_ptr 0
		.amdhsa_user_sgpr_queue_ptr 0
		.amdhsa_user_sgpr_kernarg_segment_ptr 1
		.amdhsa_user_sgpr_dispatch_id 0
		.amdhsa_user_sgpr_flat_scratch_init 0
		.amdhsa_user_sgpr_private_segment_size 0
		.amdhsa_wavefront_size32 1
		.amdhsa_uses_dynamic_stack 0
		.amdhsa_system_sgpr_private_segment_wavefront_offset 0
		.amdhsa_system_sgpr_workgroup_id_x 1
		.amdhsa_system_sgpr_workgroup_id_y 0
		.amdhsa_system_sgpr_workgroup_id_z 0
		.amdhsa_system_sgpr_workgroup_info 0
		.amdhsa_system_vgpr_workitem_id 0
		.amdhsa_next_free_vgpr 128
		.amdhsa_next_free_sgpr 27
		.amdhsa_reserve_vcc 1
		.amdhsa_reserve_flat_scratch 0
		.amdhsa_float_round_mode_32 0
		.amdhsa_float_round_mode_16_64 0
		.amdhsa_float_denorm_mode_32 3
		.amdhsa_float_denorm_mode_16_64 3
		.amdhsa_dx10_clamp 1
		.amdhsa_ieee_mode 1
		.amdhsa_fp16_overflow 0
		.amdhsa_workgroup_processor_mode 1
		.amdhsa_memory_ordered 1
		.amdhsa_forward_progress 0
		.amdhsa_shared_vgpr_count 0
		.amdhsa_exception_fp_ieee_invalid_op 0
		.amdhsa_exception_fp_denorm_src 0
		.amdhsa_exception_fp_ieee_div_zero 0
		.amdhsa_exception_fp_ieee_overflow 0
		.amdhsa_exception_fp_ieee_underflow 0
		.amdhsa_exception_fp_ieee_inexact 0
		.amdhsa_exception_int_div_zero 0
	.end_amdhsa_kernel
	.text
.Lfunc_end0:
	.size	fft_rtc_fwd_len1014_factors_13_6_13_wgs_156_tpt_78_sp_op_CI_CI_unitstride_sbrr_C2R_dirReg, .Lfunc_end0-fft_rtc_fwd_len1014_factors_13_6_13_wgs_156_tpt_78_sp_op_CI_CI_unitstride_sbrr_C2R_dirReg
                                        ; -- End function
	.section	.AMDGPU.csdata,"",@progbits
; Kernel info:
; codeLenInByte = 11452
; NumSgprs: 29
; NumVgprs: 128
; ScratchSize: 0
; MemoryBound: 0
; FloatMode: 240
; IeeeMode: 1
; LDSByteSize: 0 bytes/workgroup (compile time only)
; SGPRBlocks: 3
; VGPRBlocks: 15
; NumSGPRsForWavesPerEU: 29
; NumVGPRsForWavesPerEU: 128
; Occupancy: 8
; WaveLimiterHint : 1
; COMPUTE_PGM_RSRC2:SCRATCH_EN: 0
; COMPUTE_PGM_RSRC2:USER_SGPR: 6
; COMPUTE_PGM_RSRC2:TRAP_HANDLER: 0
; COMPUTE_PGM_RSRC2:TGID_X_EN: 1
; COMPUTE_PGM_RSRC2:TGID_Y_EN: 0
; COMPUTE_PGM_RSRC2:TGID_Z_EN: 0
; COMPUTE_PGM_RSRC2:TIDIG_COMP_CNT: 0
	.text
	.p2alignl 6, 3214868480
	.fill 48, 4, 3214868480
	.type	__hip_cuid_615a2dc211b4243a,@object ; @__hip_cuid_615a2dc211b4243a
	.section	.bss,"aw",@nobits
	.globl	__hip_cuid_615a2dc211b4243a
__hip_cuid_615a2dc211b4243a:
	.byte	0                               ; 0x0
	.size	__hip_cuid_615a2dc211b4243a, 1

	.ident	"AMD clang version 19.0.0git (https://github.com/RadeonOpenCompute/llvm-project roc-6.4.0 25133 c7fe45cf4b819c5991fe208aaa96edf142730f1d)"
	.section	".note.GNU-stack","",@progbits
	.addrsig
	.addrsig_sym __hip_cuid_615a2dc211b4243a
	.amdgpu_metadata
---
amdhsa.kernels:
  - .args:
      - .actual_access:  read_only
        .address_space:  global
        .offset:         0
        .size:           8
        .value_kind:     global_buffer
      - .offset:         8
        .size:           8
        .value_kind:     by_value
      - .actual_access:  read_only
        .address_space:  global
        .offset:         16
        .size:           8
        .value_kind:     global_buffer
      - .actual_access:  read_only
        .address_space:  global
        .offset:         24
        .size:           8
        .value_kind:     global_buffer
      - .actual_access:  read_only
        .address_space:  global
        .offset:         32
        .size:           8
        .value_kind:     global_buffer
      - .offset:         40
        .size:           8
        .value_kind:     by_value
      - .actual_access:  read_only
        .address_space:  global
        .offset:         48
        .size:           8
        .value_kind:     global_buffer
      - .actual_access:  read_only
        .address_space:  global
        .offset:         56
        .size:           8
        .value_kind:     global_buffer
      - .offset:         64
        .size:           4
        .value_kind:     by_value
      - .actual_access:  read_only
        .address_space:  global
        .offset:         72
        .size:           8
        .value_kind:     global_buffer
      - .actual_access:  read_only
        .address_space:  global
        .offset:         80
        .size:           8
        .value_kind:     global_buffer
      - .actual_access:  read_only
        .address_space:  global
        .offset:         88
        .size:           8
        .value_kind:     global_buffer
      - .actual_access:  write_only
        .address_space:  global
        .offset:         96
        .size:           8
        .value_kind:     global_buffer
    .group_segment_fixed_size: 0
    .kernarg_segment_align: 8
    .kernarg_segment_size: 104
    .language:       OpenCL C
    .language_version:
      - 2
      - 0
    .max_flat_workgroup_size: 156
    .name:           fft_rtc_fwd_len1014_factors_13_6_13_wgs_156_tpt_78_sp_op_CI_CI_unitstride_sbrr_C2R_dirReg
    .private_segment_fixed_size: 0
    .sgpr_count:     29
    .sgpr_spill_count: 0
    .symbol:         fft_rtc_fwd_len1014_factors_13_6_13_wgs_156_tpt_78_sp_op_CI_CI_unitstride_sbrr_C2R_dirReg.kd
    .uniform_work_group_size: 1
    .uses_dynamic_stack: false
    .vgpr_count:     128
    .vgpr_spill_count: 0
    .wavefront_size: 32
    .workgroup_processor_mode: 1
amdhsa.target:   amdgcn-amd-amdhsa--gfx1030
amdhsa.version:
  - 1
  - 2
...

	.end_amdgpu_metadata
